;; amdgpu-corpus repo=ROCm/rocFFT kind=compiled arch=gfx906 opt=O3
	.text
	.amdgcn_target "amdgcn-amd-amdhsa--gfx906"
	.amdhsa_code_object_version 6
	.protected	fft_rtc_back_len468_factors_13_9_4_wgs_52_tpt_52_half_op_CI_CI_unitstride_sbrr_C2R_dirReg ; -- Begin function fft_rtc_back_len468_factors_13_9_4_wgs_52_tpt_52_half_op_CI_CI_unitstride_sbrr_C2R_dirReg
	.globl	fft_rtc_back_len468_factors_13_9_4_wgs_52_tpt_52_half_op_CI_CI_unitstride_sbrr_C2R_dirReg
	.p2align	8
	.type	fft_rtc_back_len468_factors_13_9_4_wgs_52_tpt_52_half_op_CI_CI_unitstride_sbrr_C2R_dirReg,@function
fft_rtc_back_len468_factors_13_9_4_wgs_52_tpt_52_half_op_CI_CI_unitstride_sbrr_C2R_dirReg: ; @fft_rtc_back_len468_factors_13_9_4_wgs_52_tpt_52_half_op_CI_CI_unitstride_sbrr_C2R_dirReg
; %bb.0:
	s_load_dwordx4 s[8:11], s[4:5], 0x58
	s_load_dwordx4 s[12:15], s[4:5], 0x0
	;; [unrolled: 1-line block ×3, first 2 shown]
	v_mul_u32_u24_e32 v1, 0x4ed, v0
	v_mov_b32_e32 v8, 0
	v_mov_b32_e32 v6, 0
	s_waitcnt lgkmcnt(0)
	v_cmp_lt_u64_e64 s[0:1], s[14:15], 2
	v_add_u32_sdwa v10, s6, v1 dst_sel:DWORD dst_unused:UNUSED_PAD src0_sel:DWORD src1_sel:WORD_1
	v_mov_b32_e32 v11, v8
	s_and_b64 vcc, exec, s[0:1]
	v_mov_b32_e32 v7, 0
	s_cbranch_vccnz .LBB0_8
; %bb.1:
	s_load_dwordx2 s[0:1], s[4:5], 0x10
	s_add_u32 s2, s18, 8
	s_addc_u32 s3, s19, 0
	s_add_u32 s6, s16, 8
	s_addc_u32 s7, s17, 0
	v_mov_b32_e32 v6, 0
	s_waitcnt lgkmcnt(0)
	s_add_u32 s20, s0, 8
	v_mov_b32_e32 v7, 0
	v_mov_b32_e32 v1, v6
	s_addc_u32 s21, s1, 0
	s_mov_b64 s[22:23], 1
	v_mov_b32_e32 v2, v7
.LBB0_2:                                ; =>This Inner Loop Header: Depth=1
	s_load_dwordx2 s[24:25], s[20:21], 0x0
                                        ; implicit-def: $vgpr3_vgpr4
	s_waitcnt lgkmcnt(0)
	v_or_b32_e32 v9, s25, v11
	v_cmp_ne_u64_e32 vcc, 0, v[8:9]
	s_and_saveexec_b64 s[0:1], vcc
	s_xor_b64 s[26:27], exec, s[0:1]
	s_cbranch_execz .LBB0_4
; %bb.3:                                ;   in Loop: Header=BB0_2 Depth=1
	v_cvt_f32_u32_e32 v3, s24
	v_cvt_f32_u32_e32 v4, s25
	s_sub_u32 s0, 0, s24
	s_subb_u32 s1, 0, s25
	v_mac_f32_e32 v3, 0x4f800000, v4
	v_rcp_f32_e32 v3, v3
	v_mul_f32_e32 v3, 0x5f7ffffc, v3
	v_mul_f32_e32 v4, 0x2f800000, v3
	v_trunc_f32_e32 v4, v4
	v_mac_f32_e32 v3, 0xcf800000, v4
	v_cvt_u32_f32_e32 v4, v4
	v_cvt_u32_f32_e32 v3, v3
	v_mul_lo_u32 v5, s0, v4
	v_mul_hi_u32 v9, s0, v3
	v_mul_lo_u32 v13, s1, v3
	v_mul_lo_u32 v12, s0, v3
	v_add_u32_e32 v5, v9, v5
	v_add_u32_e32 v5, v5, v13
	v_mul_hi_u32 v9, v3, v12
	v_mul_lo_u32 v13, v3, v5
	v_mul_hi_u32 v15, v3, v5
	v_mul_hi_u32 v14, v4, v12
	v_mul_lo_u32 v12, v4, v12
	v_mul_hi_u32 v16, v4, v5
	v_add_co_u32_e32 v9, vcc, v9, v13
	v_addc_co_u32_e32 v13, vcc, 0, v15, vcc
	v_mul_lo_u32 v5, v4, v5
	v_add_co_u32_e32 v9, vcc, v9, v12
	v_addc_co_u32_e32 v9, vcc, v13, v14, vcc
	v_addc_co_u32_e32 v12, vcc, 0, v16, vcc
	v_add_co_u32_e32 v5, vcc, v9, v5
	v_addc_co_u32_e32 v9, vcc, 0, v12, vcc
	v_add_co_u32_e32 v3, vcc, v3, v5
	v_addc_co_u32_e32 v4, vcc, v4, v9, vcc
	v_mul_lo_u32 v5, s0, v4
	v_mul_hi_u32 v9, s0, v3
	v_mul_lo_u32 v12, s1, v3
	v_mul_lo_u32 v13, s0, v3
	v_add_u32_e32 v5, v9, v5
	v_add_u32_e32 v5, v5, v12
	v_mul_lo_u32 v14, v3, v5
	v_mul_hi_u32 v15, v3, v13
	v_mul_hi_u32 v16, v3, v5
	v_mul_hi_u32 v12, v4, v13
	v_mul_lo_u32 v13, v4, v13
	v_mul_hi_u32 v9, v4, v5
	v_add_co_u32_e32 v14, vcc, v15, v14
	v_addc_co_u32_e32 v15, vcc, 0, v16, vcc
	v_mul_lo_u32 v5, v4, v5
	v_add_co_u32_e32 v13, vcc, v14, v13
	v_addc_co_u32_e32 v12, vcc, v15, v12, vcc
	v_addc_co_u32_e32 v9, vcc, 0, v9, vcc
	v_add_co_u32_e32 v5, vcc, v12, v5
	v_addc_co_u32_e32 v9, vcc, 0, v9, vcc
	v_add_co_u32_e32 v5, vcc, v3, v5
	v_addc_co_u32_e32 v9, vcc, v4, v9, vcc
	v_mad_u64_u32 v[3:4], s[0:1], v10, v9, 0
	v_mul_hi_u32 v12, v10, v5
	v_add_co_u32_e32 v14, vcc, v12, v3
	v_addc_co_u32_e32 v15, vcc, 0, v4, vcc
	v_mad_u64_u32 v[3:4], s[0:1], v11, v5, 0
	v_mad_u64_u32 v[12:13], s[0:1], v11, v9, 0
	v_add_co_u32_e32 v3, vcc, v14, v3
	v_addc_co_u32_e32 v3, vcc, v15, v4, vcc
	v_addc_co_u32_e32 v4, vcc, 0, v13, vcc
	v_add_co_u32_e32 v5, vcc, v3, v12
	v_addc_co_u32_e32 v9, vcc, 0, v4, vcc
	v_mul_lo_u32 v12, s25, v5
	v_mul_lo_u32 v13, s24, v9
	v_mad_u64_u32 v[3:4], s[0:1], s24, v5, 0
	v_add3_u32 v4, v4, v13, v12
	v_sub_u32_e32 v12, v11, v4
	v_mov_b32_e32 v13, s25
	v_sub_co_u32_e32 v3, vcc, v10, v3
	v_subb_co_u32_e64 v12, s[0:1], v12, v13, vcc
	v_subrev_co_u32_e64 v13, s[0:1], s24, v3
	v_subbrev_co_u32_e64 v12, s[0:1], 0, v12, s[0:1]
	v_cmp_le_u32_e64 s[0:1], s25, v12
	v_cndmask_b32_e64 v14, 0, -1, s[0:1]
	v_cmp_le_u32_e64 s[0:1], s24, v13
	v_cndmask_b32_e64 v13, 0, -1, s[0:1]
	v_cmp_eq_u32_e64 s[0:1], s25, v12
	v_cndmask_b32_e64 v12, v14, v13, s[0:1]
	v_add_co_u32_e64 v13, s[0:1], 2, v5
	v_addc_co_u32_e64 v14, s[0:1], 0, v9, s[0:1]
	v_add_co_u32_e64 v15, s[0:1], 1, v5
	v_addc_co_u32_e64 v16, s[0:1], 0, v9, s[0:1]
	v_subb_co_u32_e32 v4, vcc, v11, v4, vcc
	v_cmp_ne_u32_e64 s[0:1], 0, v12
	v_cmp_le_u32_e32 vcc, s25, v4
	v_cndmask_b32_e64 v12, v16, v14, s[0:1]
	v_cndmask_b32_e64 v14, 0, -1, vcc
	v_cmp_le_u32_e32 vcc, s24, v3
	v_cndmask_b32_e64 v3, 0, -1, vcc
	v_cmp_eq_u32_e32 vcc, s25, v4
	v_cndmask_b32_e32 v3, v14, v3, vcc
	v_cmp_ne_u32_e32 vcc, 0, v3
	v_cndmask_b32_e64 v3, v15, v13, s[0:1]
	v_cndmask_b32_e32 v4, v9, v12, vcc
	v_cndmask_b32_e32 v3, v5, v3, vcc
.LBB0_4:                                ;   in Loop: Header=BB0_2 Depth=1
	s_andn2_saveexec_b64 s[0:1], s[26:27]
	s_cbranch_execz .LBB0_6
; %bb.5:                                ;   in Loop: Header=BB0_2 Depth=1
	v_cvt_f32_u32_e32 v3, s24
	s_sub_i32 s26, 0, s24
	v_rcp_iflag_f32_e32 v3, v3
	v_mul_f32_e32 v3, 0x4f7ffffe, v3
	v_cvt_u32_f32_e32 v3, v3
	v_mul_lo_u32 v4, s26, v3
	v_mul_hi_u32 v4, v3, v4
	v_add_u32_e32 v3, v3, v4
	v_mul_hi_u32 v3, v10, v3
	v_mul_lo_u32 v4, v3, s24
	v_add_u32_e32 v5, 1, v3
	v_sub_u32_e32 v4, v10, v4
	v_subrev_u32_e32 v9, s24, v4
	v_cmp_le_u32_e32 vcc, s24, v4
	v_cndmask_b32_e32 v4, v4, v9, vcc
	v_cndmask_b32_e32 v3, v3, v5, vcc
	v_add_u32_e32 v5, 1, v3
	v_cmp_le_u32_e32 vcc, s24, v4
	v_cndmask_b32_e32 v3, v3, v5, vcc
	v_mov_b32_e32 v4, v8
.LBB0_6:                                ;   in Loop: Header=BB0_2 Depth=1
	s_or_b64 exec, exec, s[0:1]
	v_mul_lo_u32 v5, v4, s24
	v_mul_lo_u32 v9, v3, s25
	v_mad_u64_u32 v[12:13], s[0:1], v3, s24, 0
	s_load_dwordx2 s[0:1], s[6:7], 0x0
	s_load_dwordx2 s[24:25], s[2:3], 0x0
	v_add3_u32 v5, v13, v9, v5
	v_sub_co_u32_e32 v9, vcc, v10, v12
	v_subb_co_u32_e32 v5, vcc, v11, v5, vcc
	s_waitcnt lgkmcnt(0)
	v_mul_lo_u32 v10, s0, v5
	v_mul_lo_u32 v11, s1, v9
	v_mad_u64_u32 v[6:7], s[0:1], s0, v9, v[6:7]
	s_add_u32 s22, s22, 1
	s_addc_u32 s23, s23, 0
	s_add_u32 s2, s2, 8
	v_mul_lo_u32 v5, s24, v5
	v_mul_lo_u32 v12, s25, v9
	v_mad_u64_u32 v[1:2], s[0:1], s24, v9, v[1:2]
	v_add3_u32 v7, v11, v7, v10
	s_addc_u32 s3, s3, 0
	v_mov_b32_e32 v9, s14
	s_add_u32 s6, s6, 8
	v_mov_b32_e32 v10, s15
	s_addc_u32 s7, s7, 0
	v_cmp_ge_u64_e32 vcc, s[22:23], v[9:10]
	s_add_u32 s20, s20, 8
	v_add3_u32 v2, v12, v2, v5
	s_addc_u32 s21, s21, 0
	s_cbranch_vccnz .LBB0_9
; %bb.7:                                ;   in Loop: Header=BB0_2 Depth=1
	v_mov_b32_e32 v11, v4
	v_mov_b32_e32 v10, v3
	s_branch .LBB0_2
.LBB0_8:
	v_mov_b32_e32 v1, v6
	v_mov_b32_e32 v3, v10
	;; [unrolled: 1-line block ×4, first 2 shown]
.LBB0_9:
	s_load_dwordx2 s[0:1], s[4:5], 0x28
	s_lshl_b64 s[6:7], s[14:15], 3
	s_add_u32 s2, s18, s6
	s_addc_u32 s3, s19, s7
                                        ; implicit-def: $vgpr5
	s_waitcnt lgkmcnt(0)
	v_cmp_gt_u64_e32 vcc, s[0:1], v[3:4]
	v_cmp_le_u64_e64 s[0:1], s[0:1], v[3:4]
	s_and_saveexec_b64 s[4:5], s[0:1]
	s_xor_b64 s[0:1], exec, s[4:5]
; %bb.10:
	s_mov_b32 s4, 0x4ec4ec5
	v_mul_hi_u32 v5, v0, s4
                                        ; implicit-def: $vgpr6_vgpr7
	v_mul_u32_u24_e32 v5, 52, v5
	v_sub_u32_e32 v5, v0, v5
                                        ; implicit-def: $vgpr0
; %bb.11:
	s_or_saveexec_b64 s[4:5], s[0:1]
	s_load_dwordx2 s[2:3], s[2:3], 0x0
	s_xor_b64 exec, exec, s[4:5]
	s_cbranch_execz .LBB0_15
; %bb.12:
	s_add_u32 s0, s16, s6
	s_addc_u32 s1, s17, s7
	s_load_dwordx2 s[0:1], s[0:1], 0x0
	s_mov_b32 s6, 0x4ec4ec5
	v_mul_hi_u32 v5, v0, s6
	v_lshlrev_b64 v[6:7], 2, v[6:7]
	s_waitcnt lgkmcnt(0)
	v_mul_lo_u32 v10, s1, v3
	v_mul_lo_u32 v11, s0, v4
	v_mad_u64_u32 v[8:9], s[0:1], s0, v3, 0
	v_mul_u32_u24_e32 v5, 52, v5
	v_sub_u32_e32 v5, v0, v5
	v_add3_u32 v9, v9, v11, v10
	v_lshlrev_b64 v[8:9], 2, v[8:9]
	v_mov_b32_e32 v0, s9
	v_add_co_u32_e64 v8, s[0:1], s8, v8
	v_addc_co_u32_e64 v0, s[0:1], v0, v9, s[0:1]
	v_add_co_u32_e64 v6, s[0:1], v8, v6
	v_addc_co_u32_e64 v7, s[0:1], v0, v7, s[0:1]
	v_lshlrev_b32_e32 v0, 2, v5
	v_add_co_u32_e64 v8, s[0:1], v6, v0
	v_addc_co_u32_e64 v9, s[0:1], 0, v7, s[0:1]
	global_load_dword v10, v[8:9], off
	global_load_dword v11, v[8:9], off offset:208
	global_load_dword v12, v[8:9], off offset:416
	;; [unrolled: 1-line block ×8, first 2 shown]
	v_add_u32_e32 v0, 0, v0
	v_cmp_eq_u32_e64 s[0:1], 51, v5
	v_add_u32_e32 v8, 0x200, v0
	v_add_u32_e32 v9, 0x400, v0
	s_waitcnt vmcnt(7)
	ds_write2_b32 v0, v10, v11 offset1:52
	s_waitcnt vmcnt(5)
	ds_write2_b32 v0, v12, v13 offset0:104 offset1:156
	s_waitcnt vmcnt(3)
	ds_write2_b32 v8, v14, v15 offset0:80 offset1:132
	;; [unrolled: 2-line block ×3, first 2 shown]
	s_waitcnt vmcnt(0)
	ds_write_b32 v0, v18 offset:1664
	s_and_saveexec_b64 s[6:7], s[0:1]
	s_cbranch_execz .LBB0_14
; %bb.13:
	global_load_dword v0, v[6:7], off offset:1872
	v_mov_b32_e32 v5, 0
	s_waitcnt vmcnt(0)
	ds_write_b32 v5, v0 offset:1872
	v_mov_b32_e32 v5, 51
.LBB0_14:
	s_or_b64 exec, exec, s[6:7]
.LBB0_15:
	s_or_b64 exec, exec, s[4:5]
	v_lshlrev_b32_e32 v6, 2, v5
	v_add_u32_e32 v0, 0, v6
	s_waitcnt lgkmcnt(0)
	; wave barrier
	s_waitcnt lgkmcnt(0)
	v_sub_u32_e32 v8, 0, v6
	ds_read_u16 v11, v0
	ds_read_u16 v12, v8 offset:1872
	v_cmp_ne_u32_e64 s[0:1], 0, v5
                                        ; implicit-def: $vgpr6_vgpr7
	s_waitcnt lgkmcnt(0)
	v_add_f16_e32 v9, v12, v11
	v_sub_f16_e32 v10, v11, v12
	s_and_saveexec_b64 s[4:5], s[0:1]
	s_xor_b64 s[4:5], exec, s[4:5]
	s_cbranch_execz .LBB0_17
; %bb.16:
	v_mov_b32_e32 v6, 0
	v_lshlrev_b64 v[9:10], 2, v[5:6]
	v_mov_b32_e32 v7, s13
	v_add_co_u32_e64 v9, s[0:1], s12, v9
	v_addc_co_u32_e64 v10, s[0:1], v7, v10, s[0:1]
	global_load_dword v7, v[9:10], off offset:1820
	ds_read_u16 v9, v8 offset:1874
	ds_read_u16 v10, v0 offset:2
	v_add_f16_e32 v13, v12, v11
	v_sub_f16_e32 v11, v11, v12
	s_waitcnt lgkmcnt(0)
	v_add_f16_e32 v12, v9, v10
	v_sub_f16_e32 v9, v10, v9
	s_waitcnt vmcnt(0)
	v_lshrrev_b32_e32 v10, 16, v7
	v_fma_f16 v14, v11, v10, v13
	v_fma_f16 v15, v12, v10, v9
	v_fma_f16 v13, -v11, v10, v13
	v_fma_f16 v16, v12, v10, -v9
	v_fma_f16 v9, -v7, v12, v14
	v_fma_f16 v10, v11, v7, v15
	v_fma_f16 v12, v7, v12, v13
	v_fma_f16 v7, v11, v7, v16
	v_pack_b32_f16 v7, v12, v7
	ds_write_b32 v8, v7 offset:1872
	v_mov_b32_e32 v7, v6
	v_mov_b32_e32 v6, v5
.LBB0_17:
	s_andn2_saveexec_b64 s[0:1], s[4:5]
	s_cbranch_execz .LBB0_19
; %bb.18:
	v_mov_b32_e32 v11, 0
	ds_read_b32 v6, v11 offset:936
	s_mov_b32 s4, 0xc0004000
	s_waitcnt lgkmcnt(0)
	v_pk_mul_f16 v12, v6, s4
	v_mov_b32_e32 v6, 0
	v_mov_b32_e32 v7, 0
	ds_write_b32 v11, v12 offset:936
.LBB0_19:
	s_or_b64 exec, exec, s[0:1]
	s_add_u32 s0, s12, 0x71c
	v_lshlrev_b64 v[6:7], 2, v[6:7]
	s_addc_u32 s1, s13, 0
	v_mov_b32_e32 v11, s1
	v_add_co_u32_e64 v6, s[0:1], s0, v6
	v_addc_co_u32_e64 v7, s[0:1], v11, v7, s[0:1]
	global_load_dword v11, v[6:7], off offset:208
	global_load_dword v12, v[6:7], off offset:416
	;; [unrolled: 1-line block ×3, first 2 shown]
	s_mov_b32 s0, 0x5040100
	v_perm_b32 v9, v10, v9, s0
	ds_write_b32 v0, v9
	ds_read_b32 v9, v0 offset:208
	ds_read_b32 v10, v8 offset:1664
	v_cmp_gt_u32_e64 s[0:1], 26, v5
	s_waitcnt lgkmcnt(0)
	v_add_f16_e32 v14, v9, v10
	v_add_f16_sdwa v15, v10, v9 dst_sel:DWORD dst_unused:UNUSED_PAD src0_sel:WORD_1 src1_sel:WORD_1
	v_sub_f16_e32 v16, v9, v10
	v_sub_f16_sdwa v9, v9, v10 dst_sel:DWORD dst_unused:UNUSED_PAD src0_sel:WORD_1 src1_sel:WORD_1
	s_waitcnt vmcnt(2)
	v_lshrrev_b32_e32 v10, 16, v11
	v_fma_f16 v17, v16, v10, v14
	v_fma_f16 v18, v15, v10, v9
	v_fma_f16 v14, -v16, v10, v14
	v_fma_f16 v9, v15, v10, -v9
	v_fma_f16 v10, -v11, v15, v17
	v_fma_f16 v17, v16, v11, v18
	v_fma_f16 v14, v11, v15, v14
	;; [unrolled: 1-line block ×3, first 2 shown]
	v_pack_b32_f16 v10, v10, v17
	v_pack_b32_f16 v9, v14, v9
	ds_write_b32 v0, v10 offset:208
	ds_write_b32 v8, v9 offset:1664
	ds_read_b32 v9, v0 offset:416
	ds_read_b32 v10, v8 offset:1456
	s_waitcnt vmcnt(1)
	v_lshrrev_b32_e32 v11, 16, v12
	s_waitcnt lgkmcnt(0)
	v_add_f16_e32 v14, v9, v10
	v_add_f16_sdwa v15, v10, v9 dst_sel:DWORD dst_unused:UNUSED_PAD src0_sel:WORD_1 src1_sel:WORD_1
	v_sub_f16_e32 v16, v9, v10
	v_sub_f16_sdwa v9, v9, v10 dst_sel:DWORD dst_unused:UNUSED_PAD src0_sel:WORD_1 src1_sel:WORD_1
	v_fma_f16 v10, v16, v11, v14
	v_fma_f16 v17, v15, v11, v9
	v_fma_f16 v14, -v16, v11, v14
	v_fma_f16 v9, v15, v11, -v9
	v_fma_f16 v10, -v12, v15, v10
	v_fma_f16 v11, v16, v12, v17
	v_fma_f16 v14, v12, v15, v14
	;; [unrolled: 1-line block ×3, first 2 shown]
	v_pack_b32_f16 v10, v10, v11
	v_pack_b32_f16 v9, v14, v9
	ds_write_b32 v0, v10 offset:416
	ds_write_b32 v8, v9 offset:1456
	ds_read_b32 v9, v0 offset:624
	ds_read_b32 v10, v8 offset:1248
	s_waitcnt vmcnt(0)
	v_lshrrev_b32_e32 v11, 16, v13
	s_waitcnt lgkmcnt(0)
	v_add_f16_e32 v12, v9, v10
	v_add_f16_sdwa v14, v10, v9 dst_sel:DWORD dst_unused:UNUSED_PAD src0_sel:WORD_1 src1_sel:WORD_1
	v_sub_f16_e32 v15, v9, v10
	v_sub_f16_sdwa v9, v9, v10 dst_sel:DWORD dst_unused:UNUSED_PAD src0_sel:WORD_1 src1_sel:WORD_1
	v_fma_f16 v10, v15, v11, v12
	v_fma_f16 v16, v14, v11, v9
	v_fma_f16 v12, -v15, v11, v12
	v_fma_f16 v9, v14, v11, -v9
	v_fma_f16 v10, -v13, v14, v10
	v_fma_f16 v11, v15, v13, v16
	v_fma_f16 v12, v13, v14, v12
	;; [unrolled: 1-line block ×3, first 2 shown]
	v_pack_b32_f16 v10, v10, v11
	v_pack_b32_f16 v9, v12, v9
	ds_write_b32 v0, v10 offset:624
	ds_write_b32 v8, v9 offset:1248
	s_and_saveexec_b64 s[4:5], s[0:1]
	s_cbranch_execz .LBB0_21
; %bb.20:
	global_load_dword v6, v[6:7], off offset:832
	ds_read_b32 v7, v0 offset:832
	ds_read_b32 v9, v8 offset:1040
	s_waitcnt lgkmcnt(0)
	v_add_f16_e32 v10, v7, v9
	v_add_f16_sdwa v11, v9, v7 dst_sel:DWORD dst_unused:UNUSED_PAD src0_sel:WORD_1 src1_sel:WORD_1
	v_sub_f16_e32 v12, v7, v9
	v_sub_f16_sdwa v7, v7, v9 dst_sel:DWORD dst_unused:UNUSED_PAD src0_sel:WORD_1 src1_sel:WORD_1
	s_waitcnt vmcnt(0)
	v_lshrrev_b32_e32 v9, 16, v6
	v_fma_f16 v13, v12, v9, v10
	v_fma_f16 v14, v11, v9, v7
	v_fma_f16 v10, -v12, v9, v10
	v_fma_f16 v7, v11, v9, -v7
	v_fma_f16 v9, -v6, v11, v13
	v_fma_f16 v13, v12, v6, v14
	v_fma_f16 v10, v6, v11, v10
	;; [unrolled: 1-line block ×3, first 2 shown]
	v_pack_b32_f16 v7, v9, v13
	v_pack_b32_f16 v6, v10, v6
	ds_write_b32 v0, v7 offset:832
	ds_write_b32 v8, v6 offset:1040
.LBB0_21:
	s_or_b64 exec, exec, s[4:5]
	v_add_u32_e32 v25, 0x400, v0
	s_waitcnt lgkmcnt(0)
	; wave barrier
	s_waitcnt lgkmcnt(0)
	s_waitcnt lgkmcnt(0)
	; wave barrier
	s_waitcnt lgkmcnt(0)
	ds_read_b32 v33, v0 offset:1728
	ds_read2_b32 v[10:11], v0 offset1:36
	ds_read2_b32 v[14:15], v0 offset0:72 offset1:108
	ds_read2_b32 v[12:13], v25 offset0:104 offset1:140
	s_mov_b32 s8, 0xba95
	s_movk_i32 s6, 0x388b
	s_waitcnt lgkmcnt(2)
	v_pk_add_f16 v26, v11, v33 neg_lo:[0,1] neg_hi:[0,1]
	v_pk_add_f16 v8, v33, v11
	v_mul_f16_sdwa v38, v26, s8 dst_sel:DWORD dst_unused:UNUSED_PAD src0_sel:WORD_1 src1_sel:DWORD
	s_mov_b32 s9, 0xbb7b
	s_waitcnt lgkmcnt(0)
	v_pk_add_f16 v28, v14, v13 neg_lo:[0,1] neg_hi:[0,1]
	ds_read2_b32 v[18:19], v0 offset0:144 offset1:180
	ds_read2_b32 v[16:17], v25 offset0:32 offset1:68
	v_fma_f16 v6, v8, s6, -v38
	s_mov_b32 s21, 0xbbf1
	s_mov_b32 s7, 0xb5ac
	v_pk_add_f16 v27, v13, v14
	v_mul_f16_sdwa v39, v28, s9 dst_sel:DWORD dst_unused:UNUSED_PAD src0_sel:WORD_1 src1_sel:DWORD
	v_add_f16_e32 v6, v10, v6
	s_movk_i32 s14, 0x2fb7
	v_mul_f16_sdwa v40, v26, s21 dst_sel:DWORD dst_unused:UNUSED_PAD src0_sel:WORD_1 src1_sel:DWORD
	v_fma_f16 v7, v27, s7, -v39
	s_mov_b32 s16, 0xb3a8
	v_add_f16_e32 v6, v7, v6
	v_fma_f16 v7, v8, s14, -v40
	s_mov_b32 s15, 0xbbc4
	v_mul_f16_sdwa v42, v28, s16 dst_sel:DWORD dst_unused:UNUSED_PAD src0_sel:WORD_1 src1_sel:DWORD
	v_pk_add_f16 v30, v15, v12 neg_lo:[0,1] neg_hi:[0,1]
	v_add_f16_e32 v7, v10, v7
	v_fma_f16 v9, v27, s15, -v42
	v_pk_add_f16 v29, v12, v15
	v_mul_f16_sdwa v41, v30, s16 dst_sel:DWORD dst_unused:UNUSED_PAD src0_sel:WORD_1 src1_sel:DWORD
	s_movk_i32 s0, 0x3b7b
	ds_read2_b32 v[20:21], v0 offset0:216 offset1:252
	v_add_f16_e32 v7, v9, v7
	v_fma_f16 v9, v29, s15, -v41
	v_mul_f16_sdwa v44, v30, s0 dst_sel:DWORD dst_unused:UNUSED_PAD src0_sel:WORD_1 src1_sel:DWORD
	s_movk_i32 s1, 0x394e
	s_waitcnt lgkmcnt(1)
	v_pk_add_f16 v32, v18, v17 neg_lo:[0,1] neg_hi:[0,1]
	v_add_f16_e32 v6, v9, v6
	v_fma_f16 v9, v29, s7, -v44
	s_mov_b32 s18, 0xb9fd
	v_pk_add_f16 v31, v17, v18
	v_mul_f16_sdwa v43, v32, s1 dst_sel:DWORD dst_unused:UNUSED_PAD src0_sel:WORD_1 src1_sel:DWORD
	s_movk_i32 s19, 0x3770
	v_add_f16_e32 v7, v9, v7
	v_fma_f16 v9, v31, s18, -v43
	s_movk_i32 s17, 0x3b15
	v_mul_f16_sdwa v46, v32, s19 dst_sel:DWORD dst_unused:UNUSED_PAD src0_sel:WORD_1 src1_sel:DWORD
	s_movk_i32 s20, 0x3bf1
	v_pk_add_f16 v35, v19, v16 neg_lo:[0,1] neg_hi:[0,1]
	v_add_f16_e32 v6, v9, v6
	v_fma_f16 v9, v31, s17, -v46
	v_pk_add_f16 v34, v16, v19
	v_mul_f16_sdwa v45, v35, s20 dst_sel:DWORD dst_unused:UNUSED_PAD src0_sel:WORD_1 src1_sel:DWORD
	v_add_f16_e32 v7, v9, v7
	v_fma_f16 v9, v34, s14, -v45
	v_mul_f16_sdwa v48, v35, s8 dst_sel:DWORD dst_unused:UNUSED_PAD src0_sel:WORD_1 src1_sel:DWORD
	s_waitcnt lgkmcnt(0)
	v_pk_add_f16 v37, v20, v21 neg_lo:[0,1] neg_hi:[0,1]
	v_add_f16_e32 v6, v9, v6
	v_fma_f16 v9, v34, s6, -v48
	v_pk_add_f16 v36, v21, v20
	v_mul_f16_sdwa v47, v37, s19 dst_sel:DWORD dst_unused:UNUSED_PAD src0_sel:WORD_1 src1_sel:DWORD
	s_mov_b32 s22, 0xb94e
	v_add_f16_e32 v9, v9, v7
	v_fma_f16 v7, v36, s17, -v47
	v_mul_f16_sdwa v49, v37, s22 dst_sel:DWORD dst_unused:UNUSED_PAD src0_sel:WORD_1 src1_sel:DWORD
	v_add_f16_e32 v7, v7, v6
	v_fma_f16 v6, v36, s18, -v49
	v_mul_f16_sdwa v50, v8, s6 dst_sel:DWORD dst_unused:UNUSED_PAD src0_sel:WORD_1 src1_sel:DWORD
	v_add_f16_e32 v6, v6, v9
	v_fma_f16 v9, v26, s8, v50
	v_mul_f16_sdwa v51, v27, s7 dst_sel:DWORD dst_unused:UNUSED_PAD src0_sel:WORD_1 src1_sel:DWORD
	v_add_f16_sdwa v9, v10, v9 dst_sel:DWORD dst_unused:UNUSED_PAD src0_sel:WORD_1 src1_sel:DWORD
	v_fma_f16 v22, v28, s9, v51
	v_mul_f16_sdwa v54, v8, s14 dst_sel:DWORD dst_unused:UNUSED_PAD src0_sel:WORD_1 src1_sel:DWORD
	v_add_f16_e32 v9, v22, v9
	v_fma_f16 v22, v26, s21, v54
	v_mul_f16_sdwa v55, v27, s15 dst_sel:DWORD dst_unused:UNUSED_PAD src0_sel:WORD_1 src1_sel:DWORD
	v_add_f16_sdwa v22, v10, v22 dst_sel:DWORD dst_unused:UNUSED_PAD src0_sel:WORD_1 src1_sel:DWORD
	v_fma_f16 v23, v28, s16, v55
	v_mul_f16_sdwa v60, v26, s9 dst_sel:DWORD dst_unused:UNUSED_PAD src0_sel:WORD_1 src1_sel:DWORD
	v_add_f16_e32 v22, v23, v22
	v_fma_f16 v23, v8, s7, -v60
	v_mul_f16_sdwa v61, v28, s1 dst_sel:DWORD dst_unused:UNUSED_PAD src0_sel:WORD_1 src1_sel:DWORD
	v_add_f16_e32 v23, v10, v23
	v_fma_f16 v24, v27, s18, -v61
	v_mul_f16_sdwa v67, v8, s7 dst_sel:DWORD dst_unused:UNUSED_PAD src0_sel:WORD_1 src1_sel:DWORD
	v_add_f16_e32 v23, v24, v23
	v_fma_f16 v24, v26, s9, v67
	v_mul_f16_sdwa v68, v27, s18 dst_sel:DWORD dst_unused:UNUSED_PAD src0_sel:WORD_1 src1_sel:DWORD
	v_add_f16_sdwa v24, v10, v24 dst_sel:DWORD dst_unused:UNUSED_PAD src0_sel:WORD_1 src1_sel:DWORD
	v_fma_f16 v52, v28, s1, v68
	v_add_f16_e32 v24, v52, v24
	v_mul_f16_sdwa v52, v29, s15 dst_sel:DWORD dst_unused:UNUSED_PAD src0_sel:WORD_1 src1_sel:DWORD
	v_fma_f16 v53, v30, s16, v52
	v_mul_f16_sdwa v57, v29, s7 dst_sel:DWORD dst_unused:UNUSED_PAD src0_sel:WORD_1 src1_sel:DWORD
	v_add_f16_e32 v9, v53, v9
	v_fma_f16 v53, v30, s0, v57
	v_mul_f16_sdwa v63, v30, s19 dst_sel:DWORD dst_unused:UNUSED_PAD src0_sel:WORD_1 src1_sel:DWORD
	v_add_f16_e32 v22, v53, v22
	v_fma_f16 v53, v29, s17, -v63
	v_mul_f16_sdwa v69, v29, s17 dst_sel:DWORD dst_unused:UNUSED_PAD src0_sel:WORD_1 src1_sel:DWORD
	v_add_f16_e32 v23, v53, v23
	v_fma_f16 v53, v30, s19, v69
	v_add_f16_e32 v24, v53, v24
	v_mul_f16_sdwa v53, v31, s18 dst_sel:DWORD dst_unused:UNUSED_PAD src0_sel:WORD_1 src1_sel:DWORD
	v_fma_f16 v56, v32, s1, v53
	v_mul_f16_sdwa v59, v31, s17 dst_sel:DWORD dst_unused:UNUSED_PAD src0_sel:WORD_1 src1_sel:DWORD
	v_add_f16_e32 v9, v56, v9
	v_fma_f16 v56, v32, s19, v59
	v_mul_f16_sdwa v65, v32, s21 dst_sel:DWORD dst_unused:UNUSED_PAD src0_sel:WORD_1 src1_sel:DWORD
	v_add_f16_e32 v22, v56, v22
	v_fma_f16 v56, v31, s14, -v65
	v_mul_f16_sdwa v71, v31, s14 dst_sel:DWORD dst_unused:UNUSED_PAD src0_sel:WORD_1 src1_sel:DWORD
	v_add_f16_e32 v23, v56, v23
	v_fma_f16 v56, v32, s21, v71
	v_add_f16_e32 v24, v56, v24
	v_mul_f16_sdwa v56, v34, s14 dst_sel:DWORD dst_unused:UNUSED_PAD src0_sel:WORD_1 src1_sel:DWORD
	v_fma_f16 v58, v35, s20, v56
	v_mul_f16_sdwa v62, v34, s6 dst_sel:DWORD dst_unused:UNUSED_PAD src0_sel:WORD_1 src1_sel:DWORD
	s_movk_i32 s23, 0x33a8
	v_add_f16_e32 v9, v58, v9
	v_fma_f16 v58, v35, s8, v62
	v_mul_f16_sdwa v66, v35, s23 dst_sel:DWORD dst_unused:UNUSED_PAD src0_sel:WORD_1 src1_sel:DWORD
	v_add_f16_e32 v22, v58, v22
	v_fma_f16 v58, v34, s15, -v66
	v_mul_f16_sdwa v72, v34, s15 dst_sel:DWORD dst_unused:UNUSED_PAD src0_sel:WORD_1 src1_sel:DWORD
	v_add_f16_e32 v74, v58, v23
	v_fma_f16 v23, v35, s23, v72
	v_mul_f16_sdwa v58, v36, s17 dst_sel:DWORD dst_unused:UNUSED_PAD src0_sel:WORD_1 src1_sel:DWORD
	v_add_f16_e32 v24, v23, v24
	v_fma_f16 v23, v37, s19, v58
	;; [unrolled: 3-line block ×3, first 2 shown]
	s_movk_i32 s24, 0x3a95
	v_mul_f16_sdwa v73, v36, s6 dst_sel:DWORD dst_unused:UNUSED_PAD src0_sel:WORD_1 src1_sel:DWORD
	v_add_f16_e32 v22, v9, v22
	v_fma_f16 v9, v37, s24, v73
	v_mul_f16_sdwa v70, v37, s24 dst_sel:DWORD dst_unused:UNUSED_PAD src0_sel:WORD_1 src1_sel:DWORD
	v_add_f16_e32 v24, v9, v24
	v_fma_f16 v9, v36, s6, -v70
	v_add_f16_e32 v9, v9, v74
	v_cmp_gt_u32_e64 s[0:1], 36, v5
	s_waitcnt lgkmcnt(0)
	; wave barrier
	s_and_saveexec_b64 s[4:5], s[0:1]
	s_cbranch_execz .LBB0_23
; %bb.22:
	v_mul_f16_e32 v79, 0xbb7b, v26
	v_sub_f16_e32 v67, v67, v79
	v_mul_f16_e32 v79, 0x394e, v28
	v_sub_f16_e32 v68, v68, v79
	v_add_f16_sdwa v67, v10, v67 dst_sel:DWORD dst_unused:UNUSED_PAD src0_sel:WORD_1 src1_sel:DWORD
	v_mul_f16_e32 v78, 0xb5ac, v8
	v_add_f16_e32 v67, v68, v67
	v_mul_f16_e32 v68, 0x3770, v30
	v_sub_f16_e32 v68, v69, v68
	v_mul_f16_e32 v69, 0xb9fd, v27
	v_add_f16_e32 v60, v78, v60
	v_mul_f16_e32 v78, 0x3b15, v29
	v_add_f16_e32 v61, v69, v61
	v_add_f16_e32 v60, v10, v60
	;; [unrolled: 1-line block ×3, first 2 shown]
	v_mul_f16_e32 v68, 0xbbf1, v32
	v_add_f16_e32 v60, v61, v60
	v_add_f16_e32 v63, v78, v63
	v_sub_f16_e32 v68, v71, v68
	v_add_f16_e32 v60, v63, v60
	v_mul_f16_e32 v63, 0x2fb7, v31
	v_add_f16_e32 v67, v68, v67
	v_mul_f16_e32 v68, 0x33a8, v35
	v_add_f16_e32 v63, v63, v65
	v_pk_add_f16 v11, v10, v11
	v_mul_f16_e32 v76, 0x2fb7, v8
	v_sub_f16_e32 v68, v72, v68
	v_add_f16_e32 v60, v63, v60
	v_mul_f16_e32 v63, 0xbbc4, v34
	v_pk_add_f16 v11, v11, v14
	v_mul_f16_e32 v74, 0x388b, v8
	v_mul_f16_e32 v82, 0xbbc4, v27
	v_add_f16_e32 v67, v68, v67
	v_mul_f16_e32 v68, 0x3a95, v37
	v_add_f16_e32 v63, v63, v66
	v_add_f16_e32 v40, v76, v40
	v_pk_add_f16 v11, v11, v15
	v_mul_f16_e32 v80, 0xb5ac, v27
	v_sub_f16_e32 v68, v73, v68
	v_mul_f16_e32 v73, 0xb5ac, v29
	v_add_f16_e32 v60, v63, v60
	v_mul_f16_e32 v63, 0x388b, v36
	v_add_f16_e32 v40, v10, v40
	v_add_f16_e32 v42, v82, v42
	v_add_f16_e32 v38, v74, v38
	v_pk_add_f16 v11, v11, v18
	v_mul_f16_e32 v71, 0xbbc4, v29
	v_mul_f16_e32 v78, 0x3b15, v31
	v_add_f16_e32 v63, v63, v70
	v_add_f16_e32 v40, v42, v40
	;; [unrolled: 1-line block ×5, first 2 shown]
	v_pk_add_f16 v11, v11, v19
	v_add_f16_e32 v67, v68, v67
	v_mul_f16_e32 v68, 0x3b7b, v30
	v_mul_f16_e32 v69, 0xb9fd, v31
	v_add_f16_e32 v60, v63, v60
	v_mul_f16_e32 v63, 0x388b, v34
	v_add_f16_e32 v40, v42, v40
	v_add_f16_e32 v42, v78, v46
	v_add_f16_e32 v38, v39, v38
	v_add_f16_e32 v39, v71, v41
	v_pk_add_f16 v11, v11, v20
	v_mul_f16_e32 v79, 0xb3a8, v28
	v_mul_f16_e32 v66, 0x2fb7, v34
	v_sub_f16_e32 v57, v57, v68
	v_mul_f16_e32 v68, 0xb9fd, v36
	v_add_f16_e32 v40, v42, v40
	v_add_f16_e32 v42, v63, v48
	;; [unrolled: 1-line block ×4, first 2 shown]
	v_pk_add_f16 v11, v11, v21
	v_mul_f16_e32 v75, 0xba95, v26
	v_sub_f16_e32 v55, v55, v79
	v_mul_f16_e32 v79, 0x3b15, v36
	v_add_f16_e32 v40, v42, v40
	v_add_f16_e32 v42, v68, v49
	;; [unrolled: 1-line block ×4, first 2 shown]
	v_pk_add_f16 v11, v11, v16
	v_mul_f16_e32 v81, 0xbb7b, v28
	v_add_f16_e32 v40, v42, v40
	v_sub_f16_e32 v42, v50, v75
	v_add_f16_e32 v38, v39, v38
	v_add_f16_e32 v39, v79, v47
	s_mov_b32 s0, 0xb770
	v_pk_add_f16 v11, v11, v17
	v_mul_f16_e32 v77, 0xbbf1, v26
	v_mul_f16_e32 v72, 0xb3a8, v30
	v_add_f16_sdwa v42, v10, v42 dst_sel:DWORD dst_unused:UNUSED_PAD src0_sel:WORD_1 src1_sel:DWORD
	v_sub_f16_e32 v44, v51, v81
	v_add_f16_e32 v38, v39, v38
	v_pk_mul_f16 v39, v26, s0 op_sel_hi:[1,0]
	v_pk_add_f16 v11, v11, v12
	v_mul_f16_e32 v61, 0x394e, v32
	v_sub_f16_e32 v54, v54, v77
	v_add_f16_e32 v42, v44, v42
	v_sub_f16_e32 v44, v52, v72
	v_pk_mul_f16 v41, v28, s8 op_sel_hi:[1,0]
	v_pk_add_f16 v11, v11, v13
	v_pk_fma_f16 v12, v8, s17, v39 op_sel:[0,0,1] op_sel_hi:[1,0,0]
	v_pk_fma_f16 v13, v8, s17, v39 op_sel:[0,0,1] op_sel_hi:[1,0,0] neg_lo:[0,0,1] neg_hi:[0,0,1]
	s_mov_b32 s0, 0xffff
	v_mul_f16_e32 v70, 0x3bf1, v35
	v_add_f16_sdwa v54, v10, v54 dst_sel:DWORD dst_unused:UNUSED_PAD src0_sel:WORD_1 src1_sel:DWORD
	v_add_f16_e32 v42, v44, v42
	v_sub_f16_e32 v44, v53, v61
	v_bfi_b32 v14, s0, v12, v13
	v_pk_fma_f16 v15, v27, s6, v41 op_sel:[0,0,1] op_sel_hi:[1,0,0]
	v_pk_fma_f16 v16, v27, s6, v41 op_sel:[0,0,1] op_sel_hi:[1,0,0] neg_lo:[0,0,1] neg_hi:[0,0,1]
	v_add_f16_e32 v54, v55, v54
	v_mul_f16_e32 v55, 0x3770, v37
	v_add_f16_e32 v42, v44, v42
	v_sub_f16_e32 v44, v56, v70
	v_pk_mul_f16 v43, v30, s21 op_sel_hi:[1,0]
	v_pk_add_f16 v14, v10, v14
	v_bfi_b32 v17, s0, v15, v16
	v_add_f16_e32 v42, v44, v42
	v_sub_f16_e32 v44, v58, v55
	v_pk_add_f16 v14, v17, v14
	v_pk_fma_f16 v17, v29, s14, v43 op_sel:[0,0,1] op_sel_hi:[1,0,0]
	v_pk_fma_f16 v18, v29, s14, v43 op_sel:[0,0,1] op_sel_hi:[1,0,0] neg_lo:[0,0,1] neg_hi:[0,0,1]
	v_add_f16_e32 v42, v44, v42
	v_pk_mul_f16 v44, v32, s9 op_sel_hi:[1,0]
	v_bfi_b32 v19, s0, v17, v18
	v_pk_add_f16 v14, v19, v14
	v_pk_fma_f16 v19, v31, s7, v44 op_sel:[0,0,1] op_sel_hi:[1,0,0]
	v_pk_fma_f16 v20, v31, s7, v44 op_sel:[0,0,1] op_sel_hi:[1,0,0] neg_lo:[0,0,1] neg_hi:[0,0,1]
	v_pk_mul_f16 v45, v35, s22 op_sel_hi:[1,0]
	v_bfi_b32 v21, s0, v19, v20
	v_mul_f16_e32 v65, 0x3770, v32
	v_pk_add_f16 v11, v11, v33
	v_pk_add_f16 v14, v21, v14
	v_pk_fma_f16 v21, v34, s18, v45 op_sel:[0,0,1] op_sel_hi:[1,0,0]
	v_pk_fma_f16 v33, v34, s18, v45 op_sel:[0,0,1] op_sel_hi:[1,0,0] neg_lo:[0,0,1] neg_hi:[0,0,1]
	v_mul_f16_e32 v77, 0xba95, v35
	v_add_f16_e32 v54, v57, v54
	v_sub_f16_e32 v59, v59, v65
	v_pk_mul_f16 v46, v37, s16 op_sel_hi:[1,0]
	v_bfi_b32 v39, s0, v21, v33
	v_mul_f16_e32 v57, 0xb94e, v37
	v_add_f16_e32 v54, v59, v54
	v_sub_f16_e32 v59, v62, v77
	v_pk_add_f16 v14, v39, v14
	v_pk_fma_f16 v39, v36, s15, v46 op_sel:[0,0,1] op_sel_hi:[1,0,0]
	v_pk_fma_f16 v41, v36, s15, v46 op_sel:[0,0,1] op_sel_hi:[1,0,0] neg_lo:[0,0,1] neg_hi:[0,0,1]
	v_add_f16_e32 v54, v59, v54
	v_sub_f16_e32 v57, v64, v57
	v_bfi_b32 v43, s0, v39, v41
	v_add_f16_e32 v54, v57, v54
	v_mad_u32_u24 v47, v5, 48, v0
	v_pk_add_f16 v14, v43, v14
	ds_write2_b32 v47, v11, v14 offset1:1
	v_pack_b32_f16 v11, v40, v54
	v_pack_b32_f16 v14, v38, v42
	ds_write2_b32 v47, v14, v11 offset0:2 offset1:3
	v_pk_mul_f16 v11, v8, s15 op_sel_hi:[1,0]
	v_pk_fma_f16 v14, v26, s16, v11 op_sel:[0,0,1] op_sel_hi:[1,0,0]
	v_pk_mul_f16 v40, v27, s17 op_sel_hi:[1,0]
	v_pk_fma_f16 v11, v26, s16, v11 op_sel:[0,0,1] op_sel_hi:[1,0,0] neg_lo:[1,0,0] neg_hi:[1,0,0]
	v_pk_fma_f16 v42, v28, s19, v40 op_sel:[0,0,1] op_sel_hi:[1,0,0]
	v_pk_mul_f16 v43, v29, s18 op_sel_hi:[1,0]
	v_pk_add_f16 v11, v10, v11 op_sel:[1,0] op_sel_hi:[0,1]
	v_pk_fma_f16 v40, v28, s19, v40 op_sel:[0,0,1] op_sel_hi:[1,0,0] neg_lo:[1,0,0] neg_hi:[1,0,0]
	v_pk_mul_f16 v45, v31, s6 op_sel_hi:[1,0]
	v_pk_add_f16 v11, v40, v11
	v_pk_fma_f16 v40, v30, s22, v43 op_sel:[0,0,1] op_sel_hi:[1,0,0] neg_lo:[1,0,0] neg_hi:[1,0,0]
	v_pk_mul_f16 v48, v34, s7 op_sel_hi:[1,0]
	v_pk_add_f16 v11, v40, v11
	v_pk_fma_f16 v40, v32, s24, v45 op_sel:[0,0,1] op_sel_hi:[1,0,0] neg_lo:[1,0,0] neg_hi:[1,0,0]
	v_alignbit_b32 v38, s0, v10, 16
	v_pk_mul_f16 v50, v36, s14 op_sel_hi:[1,0]
	v_pk_add_f16 v11, v40, v11
	v_pk_fma_f16 v40, v35, s9, v48 op_sel:[0,0,1] op_sel_hi:[1,0,0] neg_lo:[1,0,0] neg_hi:[1,0,0]
	v_pk_add_f16 v38, v38, v14
	v_pk_add_f16 v11, v40, v11
	v_pk_fma_f16 v40, v37, s20, v50 op_sel:[0,0,1] op_sel_hi:[1,0,0] neg_lo:[1,0,0] neg_hi:[1,0,0]
	v_alignbit_b32 v14, s0, v14, 16
	v_pk_fma_f16 v44, v30, s22, v43 op_sel:[0,0,1] op_sel_hi:[1,0,0]
	v_pk_add_f16 v11, v40, v11
	v_pk_add_f16 v14, v10, v14
	v_alignbit_b32 v40, s0, v42, 16
	v_pk_add_f16 v38, v42, v38
	v_pk_fma_f16 v46, v32, s24, v45 op_sel:[0,0,1] op_sel_hi:[1,0,0]
	v_pk_add_f16 v14, v40, v14
	v_alignbit_b32 v40, s0, v44, 16
	v_pk_add_f16 v38, v44, v38
	v_pk_fma_f16 v49, v35, s9, v48 op_sel:[0,0,1] op_sel_hi:[1,0,0]
	;; [unrolled: 4-line block ×3, first 2 shown]
	v_pk_add_f16 v14, v40, v14
	v_alignbit_b32 v40, s0, v49, 16
	v_pk_add_f16 v38, v49, v38
	v_pk_add_f16 v14, v40, v14
	v_alignbit_b32 v40, s0, v51, 16
	v_pk_add_f16 v38, v51, v38
	v_pk_add_f16 v14, v40, v14
	v_alignbit_b32 v38, v38, v11, 16
	v_pack_b32_f16 v11, v14, v11
	ds_write2_b32 v47, v11, v38 offset0:6 offset1:7
	v_pk_mul_f16 v11, v26, s22 op_sel_hi:[1,0]
	v_pk_fma_f16 v14, v8, s18, v11 op_sel:[0,0,1] op_sel_hi:[1,0,0] neg_lo:[0,0,1] neg_hi:[0,0,1]
	v_pk_fma_f16 v8, v8, s18, v11 op_sel:[0,0,1] op_sel_hi:[1,0,0]
	v_pk_mul_f16 v26, v28, s20 op_sel_hi:[1,0]
	v_bfi_b32 v11, s0, v14, v8
	v_pk_fma_f16 v28, v27, s14, v26 op_sel:[0,0,1] op_sel_hi:[1,0,0] neg_lo:[0,0,1] neg_hi:[0,0,1]
	v_pk_fma_f16 v26, v27, s14, v26 op_sel:[0,0,1] op_sel_hi:[1,0,0]
	v_pk_add_f16 v11, v10, v11
	v_bfi_b32 v27, s0, v28, v26
	v_pk_add_f16 v11, v27, v11
	v_pk_mul_f16 v27, v30, s8 op_sel_hi:[1,0]
	v_pk_fma_f16 v30, v29, s6, v27 op_sel:[0,0,1] op_sel_hi:[1,0,0] neg_lo:[0,0,1] neg_hi:[0,0,1]
	v_pk_fma_f16 v27, v29, s6, v27 op_sel:[0,0,1] op_sel_hi:[1,0,0]
	v_bfi_b32 v29, s0, v30, v27
	v_pk_add_f16 v11, v29, v11
	v_pk_mul_f16 v29, v32, s23 op_sel_hi:[1,0]
	v_pk_fma_f16 v32, v31, s15, v29 op_sel:[0,0,1] op_sel_hi:[1,0,0] neg_lo:[0,0,1] neg_hi:[0,0,1]
	v_pk_fma_f16 v29, v31, s15, v29 op_sel:[0,0,1] op_sel_hi:[1,0,0]
	v_bfi_b32 v31, s0, v32, v29
	v_pk_add_f16 v11, v31, v11
	v_pk_mul_f16 v31, v35, s19 op_sel_hi:[1,0]
	v_add_f16_sdwa v14, v10, v14 dst_sel:DWORD dst_unused:UNUSED_PAD src0_sel:WORD_1 src1_sel:WORD_1
	v_add_f16_e32 v8, v10, v8
	v_pk_fma_f16 v35, v34, s17, v31 op_sel:[0,0,1] op_sel_hi:[1,0,0] neg_lo:[0,0,1] neg_hi:[0,0,1]
	v_pk_fma_f16 v31, v34, s17, v31 op_sel:[0,0,1] op_sel_hi:[1,0,0]
	v_add_f16_sdwa v14, v28, v14 dst_sel:DWORD dst_unused:UNUSED_PAD src0_sel:WORD_1 src1_sel:DWORD
	v_add_f16_e32 v8, v26, v8
	v_bfi_b32 v34, s0, v35, v31
	v_add_f16_sdwa v14, v30, v14 dst_sel:DWORD dst_unused:UNUSED_PAD src0_sel:WORD_1 src1_sel:DWORD
	v_add_f16_e32 v8, v27, v8
	v_pk_add_f16 v11, v34, v11
	v_pk_mul_f16 v34, v37, s9 op_sel_hi:[1,0]
	v_add_f16_sdwa v14, v32, v14 dst_sel:DWORD dst_unused:UNUSED_PAD src0_sel:WORD_1 src1_sel:DWORD
	v_add_f16_e32 v8, v29, v8
	v_pk_fma_f16 v37, v36, s7, v34 op_sel:[0,0,1] op_sel_hi:[1,0,0] neg_lo:[0,0,1] neg_hi:[0,0,1]
	v_pk_fma_f16 v34, v36, s7, v34 op_sel:[0,0,1] op_sel_hi:[1,0,0]
	v_add_f16_sdwa v14, v35, v14 dst_sel:DWORD dst_unused:UNUSED_PAD src0_sel:WORD_1 src1_sel:DWORD
	v_add_f16_e32 v8, v31, v8
	v_add_f16_sdwa v14, v37, v14 dst_sel:DWORD dst_unused:UNUSED_PAD src0_sel:WORD_1 src1_sel:DWORD
	v_add_f16_e32 v8, v34, v8
	v_bfi_b32 v36, s0, v37, v34
	v_pack_b32_f16 v26, v60, v67
	v_pack_b32_f16 v8, v8, v14
	s_mov_b32 s1, 0x5040100
	v_pk_add_f16 v11, v36, v11
	ds_write2_b32 v47, v26, v8 offset0:4 offset1:5
	v_perm_b32 v8, v24, v9, s1
	ds_write2_b32 v47, v11, v8 offset0:8 offset1:9
	v_perm_b32 v8, v23, v7, s1
	v_perm_b32 v11, v22, v6, s1
	ds_write2_b32 v47, v11, v8 offset0:10 offset1:11
	v_bfi_b32 v8, s0, v13, v12
	v_pk_add_f16 v8, v10, v8
	v_bfi_b32 v10, s0, v16, v15
	v_pk_add_f16 v8, v10, v8
	;; [unrolled: 2-line block ×6, first 2 shown]
	ds_write_b32 v47, v8 offset:48
.LBB0_23:
	s_or_b64 exec, exec, s[4:5]
	s_movk_i32 s0, 0x4f
	v_mul_lo_u16_sdwa v8, v5, s0 dst_sel:DWORD dst_unused:UNUSED_PAD src0_sel:BYTE_0 src1_sel:DWORD
	v_lshrrev_b16_e32 v32, 10, v8
	v_mul_lo_u16_e32 v8, 13, v32
	v_sub_u16_e32 v33, v5, v8
	v_mov_b32_e32 v8, 5
	v_lshlrev_b32_sdwa v8, v8, v33 dst_sel:DWORD dst_unused:UNUSED_PAD src0_sel:DWORD src1_sel:BYTE_0
	s_waitcnt lgkmcnt(0)
	; wave barrier
	s_waitcnt lgkmcnt(0)
	global_load_dwordx4 v[10:13], v8, s[12:13]
	global_load_dwordx4 v[14:17], v8, s[12:13] offset:16
	ds_read2_b32 v[20:21], v0 offset1:52
	ds_read2_b32 v[26:27], v0 offset0:104 offset1:156
	ds_read2_b32 v[28:29], v25 offset0:56 offset1:108
	ds_read_b32 v8, v0 offset:1664
	v_add_u32_e32 v18, 0x200, v0
	ds_read2_b32 v[30:31], v18 offset0:80 offset1:132
	s_waitcnt lgkmcnt(4)
	v_lshrrev_b32_e32 v36, 16, v21
	s_waitcnt lgkmcnt(2)
	v_lshrrev_b32_e32 v19, 16, v28
	;; [unrolled: 2-line block ×3, first 2 shown]
	v_lshrrev_b32_e32 v34, 16, v29
	v_lshrrev_b32_e32 v37, 16, v26
	;; [unrolled: 1-line block ×3, first 2 shown]
	s_waitcnt lgkmcnt(0)
	v_lshrrev_b32_e32 v40, 16, v30
	v_lshrrev_b32_e32 v41, 16, v31
	s_movk_i32 s5, 0x3a21
	v_lshrrev_b32_e32 v39, 16, v20
	s_movk_i32 s0, 0x3be1
	s_movk_i32 s6, 0x318f
	;; [unrolled: 1-line block ×4, first 2 shown]
	s_mov_b32 s7, 0xbb84
	s_mov_b32 s8, 0xb924
	s_waitcnt lgkmcnt(0)
	; wave barrier
	s_waitcnt vmcnt(1)
	v_mul_f16_sdwa v42, v10, v36 dst_sel:DWORD dst_unused:UNUSED_PAD src0_sel:WORD_1 src1_sel:DWORD
	v_mul_f16_sdwa v43, v10, v21 dst_sel:DWORD dst_unused:UNUSED_PAD src0_sel:WORD_1 src1_sel:DWORD
	s_waitcnt vmcnt(0)
	v_mul_f16_sdwa v56, v35, v17 dst_sel:DWORD dst_unused:UNUSED_PAD src0_sel:DWORD src1_sel:WORD_1
	v_mul_f16_sdwa v57, v8, v17 dst_sel:DWORD dst_unused:UNUSED_PAD src0_sel:DWORD src1_sel:WORD_1
	v_mul_f16_sdwa v44, v11, v37 dst_sel:DWORD dst_unused:UNUSED_PAD src0_sel:WORD_1 src1_sel:DWORD
	v_mul_f16_sdwa v45, v11, v26 dst_sel:DWORD dst_unused:UNUSED_PAD src0_sel:WORD_1 src1_sel:DWORD
	v_mul_f16_sdwa v52, v19, v15 dst_sel:DWORD dst_unused:UNUSED_PAD src0_sel:DWORD src1_sel:WORD_1
	v_mul_f16_sdwa v53, v28, v15 dst_sel:DWORD dst_unused:UNUSED_PAD src0_sel:DWORD src1_sel:WORD_1
	v_mul_f16_sdwa v54, v34, v16 dst_sel:DWORD dst_unused:UNUSED_PAD src0_sel:DWORD src1_sel:WORD_1
	v_mul_f16_sdwa v55, v29, v16 dst_sel:DWORD dst_unused:UNUSED_PAD src0_sel:DWORD src1_sel:WORD_1
	v_fma_f16 v21, v10, v21, v42
	v_fma_f16 v10, v10, v36, -v43
	v_fma_f16 v8, v8, v17, v56
	v_fma_f16 v17, v35, v17, -v57
	v_mul_f16_sdwa v46, v12, v38 dst_sel:DWORD dst_unused:UNUSED_PAD src0_sel:WORD_1 src1_sel:DWORD
	v_mul_f16_sdwa v47, v12, v27 dst_sel:DWORD dst_unused:UNUSED_PAD src0_sel:WORD_1 src1_sel:DWORD
	;; [unrolled: 1-line block ×6, first 2 shown]
	v_fma_f16 v26, v11, v26, v44
	v_fma_f16 v11, v11, v37, -v45
	v_fma_f16 v28, v28, v15, v52
	v_fma_f16 v15, v19, v15, -v53
	;; [unrolled: 2-line block ×3, first 2 shown]
	v_add_f16_e32 v29, v21, v8
	v_add_f16_e32 v34, v10, v17
	v_sub_f16_e32 v21, v21, v8
	v_sub_f16_e32 v10, v10, v17
	v_fma_f16 v27, v12, v27, v46
	v_fma_f16 v12, v12, v38, -v47
	v_fma_f16 v30, v13, v30, v48
	v_fma_f16 v13, v13, v40, -v49
	;; [unrolled: 2-line block ×3, first 2 shown]
	v_add_f16_e32 v35, v26, v19
	v_add_f16_e32 v36, v11, v16
	v_sub_f16_e32 v17, v26, v19
	v_sub_f16_e32 v11, v11, v16
	v_mul_f16_e32 v8, 0x3924, v21
	v_mul_f16_e32 v19, 0x3924, v10
	v_fma_f16 v40, v29, s5, v20
	v_fma_f16 v41, v34, s5, v39
	v_add_f16_e32 v37, v27, v28
	v_add_f16_e32 v38, v12, v15
	v_sub_f16_e32 v16, v27, v28
	v_sub_f16_e32 v12, v12, v15
	v_fma_f16 v8, v17, s0, v8
	v_fma_f16 v19, v11, s0, v19
	v_fma_f16 v40, v35, s6, v40
	v_fma_f16 v41, v36, s6, v41
	v_sub_f16_e32 v15, v30, v31
	v_sub_f16_e32 v26, v13, v14
	v_add_f16_e32 v27, v30, v31
	v_add_f16_e32 v28, v13, v14
	v_fma_f16 v8, v16, s1, v8
	v_fma_f16 v19, v12, s1, v19
	v_fma_f16 v40, v37, -0.5, v40
	v_fma_f16 v41, v38, -0.5, v41
	v_fma_f16 v42, v15, s4, v8
	v_fma_f16 v8, v26, s4, v19
	;; [unrolled: 1-line block ×4, first 2 shown]
	v_add_f16_e32 v40, v42, v40
	v_sub_f16_e32 v41, v19, v8
	v_fma_f16 v19, v42, -2.0, v40
	v_mul_f16_e32 v42, 0xb924, v15
	v_mul_f16_e32 v43, 0xb924, v26
	v_fma_f16 v42, v21, s0, v42
	v_fma_f16 v43, v10, s0, v43
	s_mov_b32 s0, 0xbaee
	v_add_f16_e32 v46, v15, v21
	v_mul_f16_e32 v15, 0x3be1, v15
	v_fma_f16 v43, v12, s0, v43
	v_add_f16_e32 v47, v26, v10
	v_mul_f16_e32 v26, 0x3be1, v26
	v_fma_f16 v15, v17, s8, -v15
	v_fma_f16 v43, v11, s4, v43
	v_sub_f16_e32 v47, v47, v11
	v_add_f16_e32 v53, v36, v34
	v_fma_f16 v11, v11, s8, -v26
	v_fma_f16 v15, v16, s1, v15
	v_fma_f16 v11, v12, s1, v11
	;; [unrolled: 1-line block ×3, first 2 shown]
	v_add_f16_e32 v15, v38, v53
	v_add_f16_e32 v52, v35, v29
	;; [unrolled: 1-line block ×3, first 2 shown]
	v_fma_f16 v44, v27, s5, v20
	v_fma_f16 v45, v28, s5, v39
	;; [unrolled: 1-line block ×3, first 2 shown]
	v_add_f16_e32 v11, v37, v52
	v_add_f16_e32 v13, v14, v13
	v_fma_f16 v14, v35, s5, v20
	v_fma_f16 v15, v36, s5, v39
	v_fma_f16 v42, v16, s0, v42
	v_fma_f16 v44, v29, s6, v44
	v_fma_f16 v45, v34, s6, v45
	v_add_f16_e32 v11, v30, v11
	v_fma_f16 v14, v27, s6, v14
	v_fma_f16 v15, v28, s6, v15
	;; [unrolled: 1-line block ×3, first 2 shown]
	v_fma_f16 v44, v37, -0.5, v44
	v_fma_f16 v45, v38, -0.5, v45
	v_sub_f16_e32 v46, v46, v17
	v_add_f16_e32 v50, v37, v20
	v_add_f16_e32 v51, v38, v39
	;; [unrolled: 1-line block ×5, first 2 shown]
	v_fma_f16 v14, v37, -0.5, v14
	v_fma_f16 v15, v38, -0.5, v15
	v_mov_b32_e32 v17, 2
	v_fma_f16 v44, v35, s7, v44
	v_fma_f16 v45, v36, s7, v45
	v_fma_f16 v50, v54, -0.5, v50
	v_fma_f16 v51, v55, -0.5, v51
	v_add_f16_e32 v11, v20, v11
	v_add_f16_e32 v13, v39, v13
	v_fma_f16 v14, v29, s7, v14
	v_fma_f16 v15, v34, s7, v15
	v_mul_u32_u24_e32 v16, 0x1d4, v32
	v_lshlrev_b32_sdwa v17, v17, v33 dst_sel:DWORD dst_unused:UNUSED_PAD src0_sel:DWORD src1_sel:BYTE_0
	v_sub_f16_e32 v44, v44, v43
	v_add_f16_e32 v45, v42, v45
	v_mul_f16_e32 v48, 0x3aee, v46
	v_mul_f16_e32 v49, 0x3aee, v47
	v_fma_f16 v47, v47, s0, v50
	v_fma_f16 v46, v46, s1, v51
	v_sub_f16_e32 v14, v14, v10
	v_add_f16_e32 v15, v12, v15
	v_add3_u32 v16, 0, v16, v17
	v_pack_b32_f16 v11, v11, v13
	v_pack_b32_f16 v13, v41, v40
	v_fma_f16 v10, v10, 2.0, v14
	v_fma_f16 v12, v12, -2.0, v15
	ds_write2_b32 v16, v11, v13 offset1:13
	v_pack_b32_f16 v11, v44, v45
	v_pack_b32_f16 v13, v47, v46
	v_fma_f16 v43, v43, 2.0, v44
	v_fma_f16 v42, v42, -2.0, v45
	v_fma_f16 v49, v49, 2.0, v47
	v_fma_f16 v48, v48, -2.0, v46
	ds_write2_b32 v16, v11, v13 offset0:26 offset1:39
	v_pack_b32_f16 v11, v14, v15
	v_pack_b32_f16 v10, v10, v12
	v_fma_f16 v8, v8, 2.0, v41
	ds_write2_b32 v16, v11, v10 offset0:52 offset1:65
	v_pack_b32_f16 v10, v49, v48
	v_pack_b32_f16 v11, v43, v42
	ds_write2_b32 v16, v10, v11 offset0:78 offset1:91
	v_pack_b32_f16 v10, v8, v19
	ds_write_b32 v16, v10 offset:416
	s_waitcnt lgkmcnt(0)
	; wave barrier
	s_waitcnt lgkmcnt(0)
	ds_read2_b32 v[10:11], v0 offset1:52
	ds_read2_b32 v[12:13], v0 offset0:117 offset1:169
	ds_read2_b32 v[14:15], v18 offset0:106 offset1:158
	;; [unrolled: 1-line block ×3, first 2 shown]
	v_cmp_gt_u32_e64 s[0:1], 13, v5
	s_and_saveexec_b64 s[4:5], s[0:1]
	s_cbranch_execz .LBB0_25
; %bb.24:
	v_add_u32_e32 v6, 0x400, v0
	ds_read2_b32 v[8:9], v0 offset0:104 offset1:221
	ds_read2_b32 v[6:7], v6 offset0:82 offset1:199
	s_waitcnt lgkmcnt(1)
	v_lshrrev_b32_e32 v19, 16, v8
	s_waitcnt lgkmcnt(0)
	v_lshrrev_b32_e32 v22, 16, v6
	v_lshrrev_b32_e32 v23, 16, v7
	;; [unrolled: 1-line block ×3, first 2 shown]
.LBB0_25:
	s_or_b64 exec, exec, s[4:5]
	v_mul_u32_u24_e32 v20, 3, v5
	v_lshlrev_b32_e32 v20, 2, v20
	global_load_dwordx3 v[25:27], v20, s[12:13] offset:416
	global_load_dwordx3 v[28:30], v20, s[12:13] offset:1040
	s_waitcnt lgkmcnt(0)
	v_lshrrev_b32_e32 v32, 16, v17
	v_lshrrev_b32_e32 v33, 16, v15
	;; [unrolled: 1-line block ×8, first 2 shown]
	v_add_u32_e32 v20, 0x400, v0
	s_waitcnt lgkmcnt(0)
	; wave barrier
	s_waitcnt vmcnt(1)
	v_mul_f16_sdwa v38, v25, v37 dst_sel:DWORD dst_unused:UNUSED_PAD src0_sel:WORD_1 src1_sel:DWORD
	v_mul_f16_sdwa v39, v25, v12 dst_sel:DWORD dst_unused:UNUSED_PAD src0_sel:WORD_1 src1_sel:DWORD
	;; [unrolled: 1-line block ×6, first 2 shown]
	s_waitcnt vmcnt(0)
	v_mul_f16_sdwa v44, v28, v34 dst_sel:DWORD dst_unused:UNUSED_PAD src0_sel:WORD_1 src1_sel:DWORD
	v_mul_f16_sdwa v45, v28, v13 dst_sel:DWORD dst_unused:UNUSED_PAD src0_sel:WORD_1 src1_sel:DWORD
	v_mul_f16_sdwa v46, v29, v33 dst_sel:DWORD dst_unused:UNUSED_PAD src0_sel:WORD_1 src1_sel:DWORD
	v_mul_f16_sdwa v47, v29, v15 dst_sel:DWORD dst_unused:UNUSED_PAD src0_sel:WORD_1 src1_sel:DWORD
	v_mul_f16_sdwa v48, v30, v32 dst_sel:DWORD dst_unused:UNUSED_PAD src0_sel:WORD_1 src1_sel:DWORD
	v_mul_f16_sdwa v49, v30, v17 dst_sel:DWORD dst_unused:UNUSED_PAD src0_sel:WORD_1 src1_sel:DWORD
	v_fma_f16 v12, v25, v12, v38
	v_fma_f16 v25, v25, v37, -v39
	v_fma_f16 v14, v26, v14, v40
	v_fma_f16 v26, v26, v36, -v41
	;; [unrolled: 2-line block ×6, first 2 shown]
	v_sub_f16_e32 v14, v10, v14
	v_sub_f16_e32 v26, v21, v26
	;; [unrolled: 1-line block ×8, first 2 shown]
	v_fma_f16 v10, v10, 2.0, -v14
	v_fma_f16 v21, v21, 2.0, -v26
	v_fma_f16 v12, v12, 2.0, -v16
	v_fma_f16 v25, v25, 2.0, -v27
	v_add_f16_e32 v27, v14, v27
	v_sub_f16_e32 v16, v26, v16
	v_fma_f16 v11, v11, 2.0, -v15
	v_fma_f16 v31, v31, 2.0, -v29
	;; [unrolled: 1-line block ×4, first 2 shown]
	v_add_f16_e32 v30, v15, v30
	v_sub_f16_e32 v17, v29, v17
	v_sub_f16_e32 v12, v10, v12
	;; [unrolled: 1-line block ×3, first 2 shown]
	v_fma_f16 v14, v14, 2.0, -v27
	v_fma_f16 v26, v26, 2.0, -v16
	v_sub_f16_e32 v13, v11, v13
	v_sub_f16_e32 v28, v31, v28
	v_fma_f16 v15, v15, 2.0, -v30
	v_fma_f16 v29, v29, 2.0, -v17
	v_pack_b32_f16 v16, v27, v16
	v_fma_f16 v10, v10, 2.0, -v12
	v_fma_f16 v21, v21, 2.0, -v25
	;; [unrolled: 1-line block ×4, first 2 shown]
	v_pack_b32_f16 v14, v14, v26
	v_pack_b32_f16 v15, v15, v29
	;; [unrolled: 1-line block ×7, first 2 shown]
	ds_write2_b32 v0, v14, v15 offset0:117 offset1:169
	ds_write2_b32 v18, v12, v13 offset0:106 offset1:158
	ds_write2_b32 v0, v10, v11 offset1:52
	ds_write2_b32 v20, v16, v17 offset0:95 offset1:147
	s_and_saveexec_b64 s[4:5], s[0:1]
	s_cbranch_execz .LBB0_27
; %bb.26:
	v_add_u32_e32 v10, 0x68, v5
	v_add_u32_e32 v11, -13, v5
	v_cndmask_b32_e64 v10, v11, v10, s[0:1]
	v_mul_i32_i24_e32 v10, 3, v10
	v_mov_b32_e32 v11, 0
	v_lshlrev_b64 v[10:11], 2, v[10:11]
	v_mov_b32_e32 v12, s13
	v_add_co_u32_e64 v10, s[0:1], s12, v10
	v_addc_co_u32_e64 v11, s[0:1], v12, v11, s[0:1]
	global_load_dwordx3 v[10:12], v[10:11], off offset:416
	s_waitcnt vmcnt(0)
	v_mul_f16_sdwa v13, v22, v11 dst_sel:DWORD dst_unused:UNUSED_PAD src0_sel:DWORD src1_sel:WORD_1
	v_mul_f16_sdwa v14, v9, v10 dst_sel:DWORD dst_unused:UNUSED_PAD src0_sel:DWORD src1_sel:WORD_1
	;; [unrolled: 1-line block ×6, first 2 shown]
	v_fma_f16 v6, v6, v11, v13
	v_fma_f16 v13, v24, v10, -v14
	v_fma_f16 v14, v23, v12, -v15
	v_fma_f16 v11, v22, v11, -v16
	v_fma_f16 v9, v9, v10, v17
	v_fma_f16 v7, v7, v12, v18
	v_sub_f16_e32 v6, v8, v6
	v_sub_f16_e32 v10, v13, v14
	v_sub_f16_e32 v11, v19, v11
	v_sub_f16_e32 v7, v9, v7
	v_add_f16_e32 v12, v6, v10
	v_sub_f16_e32 v14, v11, v7
	v_fma_f16 v8, v8, 2.0, -v6
	v_fma_f16 v7, v9, 2.0, -v7
	;; [unrolled: 1-line block ×4, first 2 shown]
	v_sub_f16_e32 v7, v8, v7
	v_sub_f16_e32 v10, v9, v10
	v_fma_f16 v6, v6, 2.0, -v12
	v_fma_f16 v11, v11, 2.0, -v14
	v_fma_f16 v8, v8, 2.0, -v7
	v_fma_f16 v9, v9, 2.0, -v10
	v_pack_b32_f16 v6, v6, v11
	v_pack_b32_f16 v8, v8, v9
	;; [unrolled: 1-line block ×4, first 2 shown]
	ds_write2_b32 v0, v8, v6 offset0:104 offset1:221
	ds_write2_b32 v20, v7, v12 offset0:82 offset1:199
.LBB0_27:
	s_or_b64 exec, exec, s[4:5]
	s_waitcnt lgkmcnt(0)
	; wave barrier
	s_waitcnt lgkmcnt(0)
	s_and_saveexec_b64 s[0:1], vcc
	s_cbranch_execz .LBB0_29
; %bb.28:
	v_mul_lo_u32 v0, s3, v3
	v_mul_lo_u32 v6, s2, v4
	v_mad_u64_u32 v[3:4], s[0:1], s2, v3, 0
	v_lshl_add_u32 v9, v5, 2, 0
	ds_read2_b32 v[7:8], v9 offset1:52
	v_add3_u32 v4, v4, v6, v0
	v_lshlrev_b64 v[3:4], 2, v[3:4]
	v_mov_b32_e32 v0, s11
	v_add_co_u32_e32 v3, vcc, s10, v3
	v_addc_co_u32_e32 v4, vcc, v0, v4, vcc
	v_lshlrev_b64 v[0:1], 2, v[1:2]
	v_mov_b32_e32 v6, 0
	v_add_co_u32_e32 v10, vcc, v3, v0
	v_addc_co_u32_e32 v4, vcc, v4, v1, vcc
	v_lshlrev_b64 v[0:1], 2, v[5:6]
	ds_read2_b32 v[2:3], v9 offset0:104 offset1:156
	v_add_co_u32_e32 v0, vcc, v10, v0
	v_addc_co_u32_e32 v1, vcc, v4, v1, vcc
	s_waitcnt lgkmcnt(1)
	global_store_dword v[0:1], v7, off
	v_add_u32_e32 v0, 52, v5
	v_mov_b32_e32 v1, v6
	v_lshlrev_b64 v[0:1], 2, v[0:1]
	v_add_co_u32_e32 v0, vcc, v10, v0
	v_addc_co_u32_e32 v1, vcc, v4, v1, vcc
	global_store_dword v[0:1], v8, off
	v_add_u32_e32 v0, 0x68, v5
	v_mov_b32_e32 v1, v6
	v_lshlrev_b64 v[0:1], 2, v[0:1]
	v_add_co_u32_e32 v0, vcc, v10, v0
	v_addc_co_u32_e32 v1, vcc, v4, v1, vcc
	s_waitcnt lgkmcnt(0)
	global_store_dword v[0:1], v2, off
	v_add_u32_e32 v0, 0x9c, v5
	v_mov_b32_e32 v1, v6
	v_lshlrev_b64 v[0:1], 2, v[0:1]
	v_add_u32_e32 v2, 0x200, v9
	v_add_co_u32_e32 v0, vcc, v10, v0
	v_addc_co_u32_e32 v1, vcc, v4, v1, vcc
	global_store_dword v[0:1], v3, off
	v_add_u32_e32 v0, 0xd0, v5
	v_mov_b32_e32 v1, v6
	ds_read2_b32 v[2:3], v2 offset0:80 offset1:132
	v_lshlrev_b64 v[0:1], 2, v[0:1]
	v_add_co_u32_e32 v0, vcc, v10, v0
	v_addc_co_u32_e32 v1, vcc, v4, v1, vcc
	s_waitcnt lgkmcnt(0)
	global_store_dword v[0:1], v2, off
	v_add_u32_e32 v0, 0x104, v5
	v_mov_b32_e32 v1, v6
	v_lshlrev_b64 v[0:1], 2, v[0:1]
	v_add_u32_e32 v2, 0x400, v9
	v_add_co_u32_e32 v0, vcc, v10, v0
	v_addc_co_u32_e32 v1, vcc, v4, v1, vcc
	global_store_dword v[0:1], v3, off
	v_add_u32_e32 v0, 0x138, v5
	v_mov_b32_e32 v1, v6
	ds_read2_b32 v[2:3], v2 offset0:56 offset1:108
	v_lshlrev_b64 v[0:1], 2, v[0:1]
	v_add_co_u32_e32 v0, vcc, v10, v0
	v_addc_co_u32_e32 v1, vcc, v4, v1, vcc
	s_waitcnt lgkmcnt(0)
	global_store_dword v[0:1], v2, off
	v_add_u32_e32 v0, 0x16c, v5
	v_mov_b32_e32 v1, v6
	v_lshlrev_b64 v[0:1], 2, v[0:1]
	v_add_u32_e32 v5, 0x1a0, v5
	v_add_co_u32_e32 v0, vcc, v10, v0
	v_addc_co_u32_e32 v1, vcc, v4, v1, vcc
	ds_read_b32 v2, v9 offset:1664
	global_store_dword v[0:1], v3, off
	v_lshlrev_b64 v[0:1], 2, v[5:6]
	v_add_co_u32_e32 v0, vcc, v10, v0
	v_addc_co_u32_e32 v1, vcc, v4, v1, vcc
	s_waitcnt lgkmcnt(0)
	global_store_dword v[0:1], v2, off
.LBB0_29:
	s_endpgm
	.section	.rodata,"a",@progbits
	.p2align	6, 0x0
	.amdhsa_kernel fft_rtc_back_len468_factors_13_9_4_wgs_52_tpt_52_half_op_CI_CI_unitstride_sbrr_C2R_dirReg
		.amdhsa_group_segment_fixed_size 0
		.amdhsa_private_segment_fixed_size 0
		.amdhsa_kernarg_size 104
		.amdhsa_user_sgpr_count 6
		.amdhsa_user_sgpr_private_segment_buffer 1
		.amdhsa_user_sgpr_dispatch_ptr 0
		.amdhsa_user_sgpr_queue_ptr 0
		.amdhsa_user_sgpr_kernarg_segment_ptr 1
		.amdhsa_user_sgpr_dispatch_id 0
		.amdhsa_user_sgpr_flat_scratch_init 0
		.amdhsa_user_sgpr_private_segment_size 0
		.amdhsa_uses_dynamic_stack 0
		.amdhsa_system_sgpr_private_segment_wavefront_offset 0
		.amdhsa_system_sgpr_workgroup_id_x 1
		.amdhsa_system_sgpr_workgroup_id_y 0
		.amdhsa_system_sgpr_workgroup_id_z 0
		.amdhsa_system_sgpr_workgroup_info 0
		.amdhsa_system_vgpr_workitem_id 0
		.amdhsa_next_free_vgpr 83
		.amdhsa_next_free_sgpr 28
		.amdhsa_reserve_vcc 1
		.amdhsa_reserve_flat_scratch 0
		.amdhsa_float_round_mode_32 0
		.amdhsa_float_round_mode_16_64 0
		.amdhsa_float_denorm_mode_32 3
		.amdhsa_float_denorm_mode_16_64 3
		.amdhsa_dx10_clamp 1
		.amdhsa_ieee_mode 1
		.amdhsa_fp16_overflow 0
		.amdhsa_exception_fp_ieee_invalid_op 0
		.amdhsa_exception_fp_denorm_src 0
		.amdhsa_exception_fp_ieee_div_zero 0
		.amdhsa_exception_fp_ieee_overflow 0
		.amdhsa_exception_fp_ieee_underflow 0
		.amdhsa_exception_fp_ieee_inexact 0
		.amdhsa_exception_int_div_zero 0
	.end_amdhsa_kernel
	.text
.Lfunc_end0:
	.size	fft_rtc_back_len468_factors_13_9_4_wgs_52_tpt_52_half_op_CI_CI_unitstride_sbrr_C2R_dirReg, .Lfunc_end0-fft_rtc_back_len468_factors_13_9_4_wgs_52_tpt_52_half_op_CI_CI_unitstride_sbrr_C2R_dirReg
                                        ; -- End function
	.section	.AMDGPU.csdata,"",@progbits
; Kernel info:
; codeLenInByte = 8152
; NumSgprs: 32
; NumVgprs: 83
; ScratchSize: 0
; MemoryBound: 0
; FloatMode: 240
; IeeeMode: 1
; LDSByteSize: 0 bytes/workgroup (compile time only)
; SGPRBlocks: 3
; VGPRBlocks: 20
; NumSGPRsForWavesPerEU: 32
; NumVGPRsForWavesPerEU: 83
; Occupancy: 3
; WaveLimiterHint : 1
; COMPUTE_PGM_RSRC2:SCRATCH_EN: 0
; COMPUTE_PGM_RSRC2:USER_SGPR: 6
; COMPUTE_PGM_RSRC2:TRAP_HANDLER: 0
; COMPUTE_PGM_RSRC2:TGID_X_EN: 1
; COMPUTE_PGM_RSRC2:TGID_Y_EN: 0
; COMPUTE_PGM_RSRC2:TGID_Z_EN: 0
; COMPUTE_PGM_RSRC2:TIDIG_COMP_CNT: 0
	.type	__hip_cuid_50fe03d6e24628a0,@object ; @__hip_cuid_50fe03d6e24628a0
	.section	.bss,"aw",@nobits
	.globl	__hip_cuid_50fe03d6e24628a0
__hip_cuid_50fe03d6e24628a0:
	.byte	0                               ; 0x0
	.size	__hip_cuid_50fe03d6e24628a0, 1

	.ident	"AMD clang version 19.0.0git (https://github.com/RadeonOpenCompute/llvm-project roc-6.4.0 25133 c7fe45cf4b819c5991fe208aaa96edf142730f1d)"
	.section	".note.GNU-stack","",@progbits
	.addrsig
	.addrsig_sym __hip_cuid_50fe03d6e24628a0
	.amdgpu_metadata
---
amdhsa.kernels:
  - .args:
      - .actual_access:  read_only
        .address_space:  global
        .offset:         0
        .size:           8
        .value_kind:     global_buffer
      - .offset:         8
        .size:           8
        .value_kind:     by_value
      - .actual_access:  read_only
        .address_space:  global
        .offset:         16
        .size:           8
        .value_kind:     global_buffer
      - .actual_access:  read_only
        .address_space:  global
        .offset:         24
        .size:           8
        .value_kind:     global_buffer
      - .actual_access:  read_only
        .address_space:  global
        .offset:         32
        .size:           8
        .value_kind:     global_buffer
      - .offset:         40
        .size:           8
        .value_kind:     by_value
      - .actual_access:  read_only
        .address_space:  global
        .offset:         48
        .size:           8
        .value_kind:     global_buffer
      - .actual_access:  read_only
        .address_space:  global
        .offset:         56
        .size:           8
        .value_kind:     global_buffer
      - .offset:         64
        .size:           4
        .value_kind:     by_value
      - .actual_access:  read_only
        .address_space:  global
        .offset:         72
        .size:           8
        .value_kind:     global_buffer
      - .actual_access:  read_only
        .address_space:  global
        .offset:         80
        .size:           8
        .value_kind:     global_buffer
      - .actual_access:  read_only
        .address_space:  global
        .offset:         88
        .size:           8
        .value_kind:     global_buffer
      - .actual_access:  write_only
        .address_space:  global
        .offset:         96
        .size:           8
        .value_kind:     global_buffer
    .group_segment_fixed_size: 0
    .kernarg_segment_align: 8
    .kernarg_segment_size: 104
    .language:       OpenCL C
    .language_version:
      - 2
      - 0
    .max_flat_workgroup_size: 52
    .name:           fft_rtc_back_len468_factors_13_9_4_wgs_52_tpt_52_half_op_CI_CI_unitstride_sbrr_C2R_dirReg
    .private_segment_fixed_size: 0
    .sgpr_count:     32
    .sgpr_spill_count: 0
    .symbol:         fft_rtc_back_len468_factors_13_9_4_wgs_52_tpt_52_half_op_CI_CI_unitstride_sbrr_C2R_dirReg.kd
    .uniform_work_group_size: 1
    .uses_dynamic_stack: false
    .vgpr_count:     83
    .vgpr_spill_count: 0
    .wavefront_size: 64
amdhsa.target:   amdgcn-amd-amdhsa--gfx906
amdhsa.version:
  - 1
  - 2
...

	.end_amdgpu_metadata
